;; amdgpu-corpus repo=ROCm/rocFFT kind=compiled arch=gfx1030 opt=O3
	.text
	.amdgcn_target "amdgcn-amd-amdhsa--gfx1030"
	.amdhsa_code_object_version 6
	.protected	bluestein_single_fwd_len26_dim1_dp_op_CI_CI ; -- Begin function bluestein_single_fwd_len26_dim1_dp_op_CI_CI
	.globl	bluestein_single_fwd_len26_dim1_dp_op_CI_CI
	.p2align	8
	.type	bluestein_single_fwd_len26_dim1_dp_op_CI_CI,@function
bluestein_single_fwd_len26_dim1_dp_op_CI_CI: ; @bluestein_single_fwd_len26_dim1_dp_op_CI_CI
; %bb.0:
	s_load_dwordx4 s[16:19], s[4:5], 0x28
	v_lshrrev_b32_e32 v52, 1, v0
	v_mov_b32_e32 v137, 0
	s_mov_b32 s0, exec_lo
	v_lshl_or_b32 v136, s6, 5, v52
	s_waitcnt lgkmcnt(0)
	v_cmpx_gt_u64_e64 s[16:17], v[136:137]
	s_cbranch_execz .LBB0_10
; %bb.1:
	s_clause 0x1
	s_load_dwordx4 s[0:3], s[4:5], 0x18
	s_load_dwordx4 s[8:11], s[4:5], 0x0
	v_and_b32_e32 v169, 1, v0
	v_mul_u32_u24_e32 v142, 26, v52
	s_mov_b32 s28, 0x42a4c3d2
	s_mov_b32 s34, 0x66966769
	;; [unrolled: 1-line block ×3, first 2 shown]
	v_lshlrev_b32_e32 v141, 4, v169
	v_or_b32_e32 v52, v142, v169
	s_mov_b32 s24, 0x24c2f84
	s_mov_b32 s30, 0x4bc48dbf
	;; [unrolled: 1-line block ×3, first 2 shown]
	v_lshl_or_b32 v170, v142, 4, v141
	v_lshlrev_b32_e32 v171, 4, v52
	s_mov_b32 s26, 0x4267c47c
	s_mov_b32 s29, 0xbfea55e2
	;; [unrolled: 1-line block ×6, first 2 shown]
	s_waitcnt lgkmcnt(0)
	s_load_dwordx4 s[12:15], s[0:1], 0x0
	s_mov_b32 s20, 0xe00740e9
	s_mov_b32 s16, 0xebaa3ed8
	;; [unrolled: 1-line block ×12, first 2 shown]
	s_load_dwordx2 s[4:5], s[4:5], 0x38
	s_waitcnt lgkmcnt(0)
	v_mad_u64_u32 v[1:2], null, s14, v136, 0
	v_mul_lo_u32 v4, s13, v169
	s_lshl_b64 s[0:1], s[12:13], 5
	v_mad_u64_u32 v[2:3], null, s15, v136, v[2:3]
	v_mul_lo_u32 v3, s12, v169
	s_mov_b32 s14, 0xb2365da1
	s_mov_b32 s12, 0xd0032e0c
	;; [unrolled: 1-line block ×4, first 2 shown]
	v_lshlrev_b64 v[0:1], 4, v[1:2]
	v_lshlrev_b64 v[2:3], 4, v[3:4]
	v_add_co_u32 v0, vcc_lo, s18, v0
	v_add_co_ci_u32_e32 v1, vcc_lo, s19, v1, vcc_lo
	s_mov_b32 s18, 0x1ea71119
	v_add_co_u32 v0, vcc_lo, v0, v2
	v_add_co_ci_u32_e32 v1, vcc_lo, v1, v3, vcc_lo
	s_mov_b32 s19, 0x3fe22d96
	v_add_co_u32 v8, vcc_lo, v0, s0
	v_add_co_ci_u32_e32 v9, vcc_lo, s1, v1, vcc_lo
	global_load_dwordx4 v[20:23], v[0:1], off
	s_clause 0x1
	global_load_dwordx4 v[0:3], v141, s[8:9]
	global_load_dwordx4 v[4:7], v141, s[8:9] offset:32
	global_load_dwordx4 v[24:27], v[8:9], off
	v_add_co_u32 v8, vcc_lo, v8, s0
	v_add_co_ci_u32_e32 v9, vcc_lo, s1, v9, vcc_lo
	v_add_co_u32 v16, vcc_lo, v8, s0
	v_add_co_ci_u32_e32 v17, vcc_lo, s1, v9, vcc_lo
	global_load_dwordx4 v[28:31], v[8:9], off
	s_clause 0x1
	global_load_dwordx4 v[12:15], v141, s[8:9] offset:64
	global_load_dwordx4 v[8:11], v141, s[8:9] offset:96
	global_load_dwordx4 v[32:35], v[16:17], off
	v_add_co_u32 v40, vcc_lo, v16, s0
	v_add_co_ci_u32_e32 v41, vcc_lo, s1, v17, vcc_lo
	global_load_dwordx4 v[36:39], v[40:41], off
	global_load_dwordx4 v[16:19], v141, s[8:9] offset:128
	s_waitcnt vmcnt(8)
	v_mul_f64 v[42:43], v[22:23], v[2:3]
	s_waitcnt vmcnt(6)
	v_mul_f64 v[46:47], v[26:27], v[6:7]
	v_mul_f64 v[48:49], v[24:25], v[6:7]
	;; [unrolled: 1-line block ×3, first 2 shown]
	s_waitcnt vmcnt(4)
	v_mul_f64 v[50:51], v[30:31], v[14:15]
	v_fma_f64 v[53:54], v[20:21], v[0:1], v[42:43]
	v_fma_f64 v[57:58], v[24:25], v[4:5], v[46:47]
	s_waitcnt vmcnt(2)
	v_mul_f64 v[24:25], v[32:33], v[10:11]
	v_mul_f64 v[20:21], v[28:29], v[14:15]
	v_fma_f64 v[59:60], v[26:27], v[4:5], -v[48:49]
	s_waitcnt vmcnt(0)
	v_mul_f64 v[26:27], v[38:39], v[18:19]
	v_fma_f64 v[55:56], v[22:23], v[0:1], -v[44:45]
	v_mul_f64 v[42:43], v[34:35], v[10:11]
	v_fma_f64 v[61:62], v[28:29], v[12:13], v[50:51]
	v_add_co_u32 v28, vcc_lo, v40, s0
	v_add_co_ci_u32_e32 v29, vcc_lo, s1, v41, vcc_lo
	v_fma_f64 v[67:68], v[34:35], v[8:9], -v[24:25]
	v_mul_f64 v[24:25], v[36:37], v[18:19]
	v_fma_f64 v[63:64], v[30:31], v[12:13], -v[20:21]
	global_load_dwordx4 v[20:23], v141, s[8:9] offset:160
	v_fma_f64 v[69:70], v[36:37], v[16:17], v[26:27]
	v_fma_f64 v[65:66], v[32:33], v[8:9], v[42:43]
	v_add_co_u32 v36, vcc_lo, v28, s0
	v_add_co_ci_u32_e32 v37, vcc_lo, s1, v29, vcc_lo
	v_fma_f64 v[71:72], v[38:39], v[16:17], -v[24:25]
	global_load_dwordx4 v[24:27], v[28:29], off
	s_waitcnt vmcnt(0)
	v_mul_f64 v[30:31], v[26:27], v[22:23]
	v_mul_f64 v[32:33], v[24:25], v[22:23]
	v_fma_f64 v[73:74], v[24:25], v[20:21], v[30:31]
	v_fma_f64 v[75:76], v[26:27], v[20:21], -v[32:33]
	global_load_dwordx4 v[32:35], v[36:37], off
	s_clause 0x1
	global_load_dwordx4 v[24:27], v141, s[8:9] offset:192
	global_load_dwordx4 v[28:31], v141, s[8:9] offset:224
	v_add_co_u32 v36, vcc_lo, v36, s0
	v_add_co_ci_u32_e32 v37, vcc_lo, s1, v37, vcc_lo
	v_add_co_u32 v44, vcc_lo, v36, s0
	v_add_co_ci_u32_e32 v45, vcc_lo, s1, v37, vcc_lo
	s_waitcnt vmcnt(1)
	v_mul_f64 v[38:39], v[34:35], v[26:27]
	v_mul_f64 v[40:41], v[32:33], v[26:27]
	v_fma_f64 v[77:78], v[32:33], v[24:25], v[38:39]
	v_fma_f64 v[79:80], v[34:35], v[24:25], -v[40:41]
	global_load_dwordx4 v[32:35], v[36:37], off
	s_waitcnt vmcnt(0)
	v_mul_f64 v[38:39], v[34:35], v[30:31]
	v_mul_f64 v[40:41], v[32:33], v[30:31]
	v_fma_f64 v[81:82], v[32:33], v[28:29], v[38:39]
	v_fma_f64 v[83:84], v[34:35], v[28:29], -v[40:41]
	global_load_dwordx4 v[40:43], v[44:45], off
	s_clause 0x1
	global_load_dwordx4 v[32:35], v141, s[8:9] offset:256
	global_load_dwordx4 v[36:39], v141, s[8:9] offset:288
	v_add_co_u32 v44, vcc_lo, v44, s0
	v_add_co_ci_u32_e32 v45, vcc_lo, s1, v45, vcc_lo
	v_add_co_u32 v97, vcc_lo, v44, s0
	v_add_co_ci_u32_e32 v98, vcc_lo, s1, v45, vcc_lo
	;; [unrolled: 2-line block ×3, first 2 shown]
	s_waitcnt vmcnt(1)
	v_mul_f64 v[46:47], v[42:43], v[34:35]
	v_mul_f64 v[48:49], v[40:41], v[34:35]
	v_fma_f64 v[85:86], v[40:41], v[32:33], v[46:47]
	v_fma_f64 v[87:88], v[42:43], v[32:33], -v[48:49]
	global_load_dwordx4 v[40:43], v[44:45], off
	s_waitcnt vmcnt(0)
	v_mul_f64 v[46:47], v[42:43], v[38:39]
	v_mul_f64 v[48:49], v[40:41], v[38:39]
	v_fma_f64 v[89:90], v[40:41], v[36:37], v[46:47]
	v_fma_f64 v[91:92], v[42:43], v[36:37], -v[48:49]
	global_load_dwordx4 v[48:51], v[97:98], off
	s_clause 0x1
	global_load_dwordx4 v[40:43], v141, s[8:9] offset:320
	global_load_dwordx4 v[44:47], v141, s[8:9] offset:352
	s_waitcnt vmcnt(1)
	v_mul_f64 v[93:94], v[50:51], v[42:43]
	v_mul_f64 v[95:96], v[48:49], v[42:43]
	v_fma_f64 v[93:94], v[48:49], v[40:41], v[93:94]
	v_fma_f64 v[95:96], v[50:51], v[40:41], -v[95:96]
	global_load_dwordx4 v[48:51], v[101:102], off
	s_waitcnt vmcnt(0)
	v_mul_f64 v[97:98], v[50:51], v[46:47]
	v_mul_f64 v[99:100], v[48:49], v[46:47]
	v_fma_f64 v[97:98], v[48:49], v[44:45], v[97:98]
	v_add_co_u32 v48, vcc_lo, v101, s0
	v_add_co_ci_u32_e32 v49, vcc_lo, s1, v102, vcc_lo
	v_fma_f64 v[99:100], v[50:51], v[44:45], -v[99:100]
	global_load_dwordx4 v[101:104], v[48:49], off
	global_load_dwordx4 v[48:51], v141, s[8:9] offset:384
	ds_write_b128 v171, v[53:56]
	v_cmp_eq_u32_e32 vcc_lo, 0, v169
	s_waitcnt vmcnt(0)
	v_mul_f64 v[105:106], v[103:104], v[50:51]
	v_mul_f64 v[107:108], v[101:102], v[50:51]
	v_fma_f64 v[101:102], v[101:102], v[48:49], v[105:106]
	v_fma_f64 v[103:104], v[103:104], v[48:49], -v[107:108]
	ds_write_b128 v170, v[57:60] offset:32
	ds_write_b128 v170, v[61:64] offset:64
	;; [unrolled: 1-line block ×12, first 2 shown]
	s_load_dwordx4 s[0:3], s[2:3], 0x0
	s_waitcnt lgkmcnt(0)
	s_barrier
	buffer_gl0_inv
	ds_read_b128 v[52:55], v171
	ds_read_b128 v[56:59], v170 offset:32
	ds_read_b128 v[60:63], v170 offset:64
	;; [unrolled: 1-line block ×3, first 2 shown]
	s_waitcnt lgkmcnt(2)
	v_add_f64 v[68:69], v[52:53], v[56:57]
	v_add_f64 v[70:71], v[54:55], v[58:59]
	s_waitcnt lgkmcnt(1)
	v_add_f64 v[68:69], v[68:69], v[60:61]
	v_add_f64 v[70:71], v[70:71], v[62:63]
	;; [unrolled: 3-line block ×3, first 2 shown]
	ds_read_b128 v[68:71], v170 offset:128
	ds_read_b128 v[72:75], v170 offset:160
	s_waitcnt lgkmcnt(1)
	v_add_f64 v[76:77], v[76:77], v[68:69]
	v_add_f64 v[78:79], v[78:79], v[70:71]
	s_waitcnt lgkmcnt(0)
	v_add_f64 v[84:85], v[76:77], v[72:73]
	v_add_f64 v[86:87], v[78:79], v[74:75]
	ds_read_b128 v[76:79], v170 offset:192
	ds_read_b128 v[80:83], v170 offset:224
	s_waitcnt lgkmcnt(1)
	v_add_f64 v[88:89], v[84:85], v[76:77]
	v_add_f64 v[90:91], v[86:87], v[78:79]
	s_waitcnt lgkmcnt(0)
	v_add_f64 v[84:85], v[76:77], v[80:81]
	v_add_f64 v[86:87], v[78:79], v[82:83]
	v_add_f64 v[92:93], v[76:77], -v[80:81]
	v_add_f64 v[94:95], v[78:79], -v[82:83]
	v_add_f64 v[100:101], v[88:89], v[80:81]
	v_add_f64 v[102:103], v[90:91], v[82:83]
	ds_read_b128 v[80:83], v170 offset:256
	ds_read_b128 v[88:91], v170 offset:288
	v_mul_f64 v[176:177], v[92:93], s[30:31]
	v_mul_f64 v[174:175], v[94:95], s[30:31]
	s_waitcnt lgkmcnt(1)
	v_add_f64 v[76:77], v[72:73], v[80:81]
	v_add_f64 v[78:79], v[74:75], v[82:83]
	v_add_f64 v[96:97], v[72:73], -v[80:81]
	v_add_f64 v[98:99], v[74:75], -v[82:83]
	v_add_f64 v[80:81], v[100:101], v[80:81]
	v_add_f64 v[82:83], v[102:103], v[82:83]
	s_waitcnt lgkmcnt(0)
	v_add_f64 v[72:73], v[68:69], v[88:89]
	v_add_f64 v[74:75], v[70:71], v[90:91]
	v_add_f64 v[100:101], v[68:69], -v[88:89]
	v_add_f64 v[102:103], v[70:71], -v[90:91]
	v_mul_f64 v[186:187], v[96:97], s[36:37]
	v_mul_f64 v[184:185], v[98:99], s[36:37]
	v_add_f64 v[104:105], v[80:81], v[88:89]
	v_add_f64 v[106:107], v[82:83], v[90:91]
	ds_read_b128 v[80:83], v170 offset:320
	ds_read_b128 v[88:91], v170 offset:352
	v_mul_f64 v[182:183], v[100:101], s[38:39]
	v_mul_f64 v[180:181], v[102:103], s[38:39]
	s_waitcnt lgkmcnt(1)
	v_add_f64 v[68:69], v[64:65], v[80:81]
	v_add_f64 v[70:71], v[66:67], v[82:83]
	v_add_f64 v[114:115], v[64:65], -v[80:81]
	v_add_f64 v[122:123], v[66:67], -v[82:83]
	v_add_f64 v[64:65], v[104:105], v[80:81]
	v_add_f64 v[66:67], v[106:107], v[82:83]
	s_waitcnt lgkmcnt(0)
	v_add_f64 v[80:81], v[60:61], v[88:89]
	v_add_f64 v[82:83], v[62:63], v[90:91]
	v_add_f64 v[124:125], v[60:61], -v[88:89]
	v_add_f64 v[126:127], v[62:63], -v[90:91]
	ds_read_b128 v[60:63], v170 offset:384
	s_waitcnt lgkmcnt(0)
	s_barrier
	buffer_gl0_inv
	v_mul_f64 v[178:179], v[114:115], s[30:31]
	v_add_f64 v[64:65], v[64:65], v[88:89]
	v_add_f64 v[66:67], v[66:67], v[90:91]
	v_add_f64 v[88:89], v[58:59], -v[62:63]
	v_add_f64 v[90:91], v[56:57], v[60:61]
	v_add_f64 v[104:105], v[58:59], v[62:63]
	v_add_f64 v[106:107], v[56:57], -v[60:61]
	v_add_f64 v[56:57], v[64:65], v[60:61]
	v_add_f64 v[58:59], v[66:67], v[62:63]
	v_mul_f64 v[60:61], v[88:89], s[26:27]
	v_mul_f64 v[62:63], v[88:89], s[28:29]
	;; [unrolled: 1-line block ×9, first 2 shown]
	v_fma_f64 v[110:111], v[90:91], s[20:21], -v[60:61]
	v_fma_f64 v[60:61], v[90:91], s[20:21], v[60:61]
	v_fma_f64 v[112:113], v[90:91], s[18:19], -v[62:63]
	v_fma_f64 v[62:63], v[90:91], s[18:19], v[62:63]
	;; [unrolled: 2-line block ×6, first 2 shown]
	v_mul_f64 v[88:89], v[106:107], s[26:27]
	v_mul_f64 v[90:91], v[106:107], s[28:29]
	;; [unrolled: 1-line block ×3, first 2 shown]
	v_fma_f64 v[149:150], v[104:105], s[16:17], v[132:133]
	v_fma_f64 v[132:133], v[104:105], s[16:17], -v[132:133]
	v_fma_f64 v[151:152], v[104:105], s[14:15], v[134:135]
	v_fma_f64 v[134:135], v[104:105], s[14:15], -v[134:135]
	v_fma_f64 v[153:154], v[104:105], s[12:13], v[137:138]
	v_fma_f64 v[137:138], v[104:105], s[12:13], -v[137:138]
	s_mov_b32 s27, 0x3fddbe06
	v_mul_f64 v[188:189], v[94:95], s[26:27]
	v_add_f64 v[62:63], v[52:53], v[62:63]
	v_add_f64 v[157:158], v[52:53], v[64:65]
	;; [unrolled: 1-line block ×5, first 2 shown]
	v_mul_f64 v[118:119], v[98:99], s[24:25]
	v_mul_f64 v[120:121], v[96:97], s[24:25]
	v_add_f64 v[130:131], v[52:53], v[130:131]
	v_fma_f64 v[139:140], v[104:105], s[20:21], v[88:89]
	v_fma_f64 v[143:144], v[104:105], s[20:21], -v[88:89]
	v_fma_f64 v[145:146], v[104:105], s[18:19], v[90:91]
	v_fma_f64 v[147:148], v[104:105], s[18:19], -v[90:91]
	;; [unrolled: 2-line block ×3, first 2 shown]
	v_add_f64 v[165:166], v[54:55], v[134:135]
	v_add_f64 v[134:135], v[52:53], v[128:129]
	v_add_f64 v[106:107], v[52:53], v[110:111]
	v_add_f64 v[88:89], v[52:53], v[60:61]
	v_add_f64 v[60:61], v[52:53], v[112:113]
	v_add_f64 v[149:150], v[54:55], v[149:150]
	v_add_f64 v[159:160], v[54:55], v[132:133]
	v_add_f64 v[151:152], v[54:55], v[151:152]
	v_add_f64 v[172:173], v[54:55], v[153:154]
	v_add_f64 v[137:138], v[54:55], v[137:138]
	v_mul_f64 v[112:113], v[102:103], s[22:23]
	v_mul_f64 v[153:154], v[126:127], s[22:23]
	v_add_f64 v[110:111], v[54:55], v[139:140]
	v_add_f64 v[90:91], v[54:55], v[143:144]
	v_add_f64 v[143:144], v[54:55], v[145:146]
	v_add_f64 v[145:146], v[54:55], v[147:148]
	v_add_f64 v[147:148], v[52:53], v[116:117]
	v_add_f64 v[128:129], v[54:55], v[104:105]
	v_mul_f64 v[104:105], v[126:127], s[28:29]
	v_add_f64 v[139:140], v[52:53], v[108:109]
	v_add_f64 v[132:133], v[54:55], v[155:156]
	v_mul_f64 v[108:109], v[122:123], s[34:35]
	v_mul_f64 v[116:117], v[100:101], s[22:23]
	;; [unrolled: 1-line block ×3, first 2 shown]
	v_fma_f64 v[52:53], v[80:81], s[18:19], -v[104:105]
	v_fma_f64 v[64:65], v[68:69], s[16:17], -v[108:109]
	v_add_f64 v[52:53], v[52:53], v[106:107]
	v_mul_f64 v[106:107], v[124:125], s[28:29]
	v_add_f64 v[52:53], v[64:65], v[52:53]
	v_fma_f64 v[54:55], v[82:83], s[18:19], v[106:107]
	v_add_f64 v[54:55], v[54:55], v[110:111]
	v_mul_f64 v[110:111], v[114:115], s[34:35]
	v_fma_f64 v[64:65], v[70:71], s[16:17], v[110:111]
	v_add_f64 v[54:55], v[64:65], v[54:55]
	v_fma_f64 v[64:65], v[72:73], s[14:15], -v[112:113]
	v_add_f64 v[52:53], v[64:65], v[52:53]
	v_fma_f64 v[64:65], v[74:75], s[14:15], v[116:117]
	v_add_f64 v[54:55], v[64:65], v[54:55]
	v_fma_f64 v[64:65], v[76:77], s[12:13], -v[118:119]
	v_add_f64 v[52:53], v[64:65], v[52:53]
	;; [unrolled: 4-line block ×3, first 2 shown]
	v_fma_f64 v[64:65], v[86:87], s[6:7], v[176:177]
	v_add_f64 v[54:55], v[64:65], v[54:55]
	v_fma_f64 v[64:65], v[80:81], s[14:15], -v[153:154]
	v_fma_f64 v[153:154], v[80:81], s[14:15], v[153:154]
	v_add_f64 v[60:61], v[64:65], v[60:61]
	v_fma_f64 v[64:65], v[82:83], s[14:15], v[155:156]
	v_add_f64 v[62:63], v[153:154], v[62:63]
	v_fma_f64 v[153:154], v[82:83], s[14:15], -v[155:156]
	v_add_f64 v[64:65], v[64:65], v[143:144]
	v_mul_f64 v[143:144], v[122:123], s[30:31]
	v_add_f64 v[145:146], v[153:154], v[145:146]
	v_fma_f64 v[66:67], v[68:69], s[6:7], -v[143:144]
	v_fma_f64 v[143:144], v[68:69], s[6:7], v[143:144]
	v_add_f64 v[60:61], v[66:67], v[60:61]
	v_fma_f64 v[66:67], v[70:71], s[6:7], v[178:179]
	v_add_f64 v[62:63], v[143:144], v[62:63]
	v_fma_f64 v[143:144], v[70:71], s[6:7], -v[178:179]
	v_add_f64 v[64:65], v[66:67], v[64:65]
	v_fma_f64 v[66:67], v[72:73], s[12:13], -v[180:181]
	v_add_f64 v[143:144], v[143:144], v[145:146]
	v_fma_f64 v[145:146], v[72:73], s[12:13], v[180:181]
	v_add_f64 v[60:61], v[66:67], v[60:61]
	v_fma_f64 v[66:67], v[74:75], s[12:13], v[182:183]
	v_add_f64 v[62:63], v[145:146], v[62:63]
	v_fma_f64 v[145:146], v[74:75], s[12:13], -v[182:183]
	v_add_f64 v[64:65], v[66:67], v[64:65]
	v_fma_f64 v[66:67], v[76:77], s[16:17], -v[184:185]
	v_add_f64 v[143:144], v[145:146], v[143:144]
	;; [unrolled: 8-line block ×3, first 2 shown]
	v_fma_f64 v[145:146], v[84:85], s[20:21], v[188:189]
	v_add_f64 v[64:65], v[64:65], v[60:61]
	v_mul_f64 v[60:61], v[92:93], s[26:27]
	v_fma_f64 v[153:154], v[86:87], s[20:21], -v[60:61]
	v_fma_f64 v[190:191], v[86:87], s[20:21], v[60:61]
	v_add_f64 v[60:61], v[145:146], v[62:63]
	v_add_f64 v[62:63], v[153:154], v[143:144]
	v_mul_f64 v[153:154], v[126:127], s[30:31]
	v_add_f64 v[66:67], v[190:191], v[66:67]
	v_fma_f64 v[143:144], v[80:81], s[6:7], -v[153:154]
	v_fma_f64 v[153:154], v[80:81], s[6:7], v[153:154]
	v_add_f64 v[143:144], v[143:144], v[147:148]
	v_mul_f64 v[147:148], v[124:125], s[30:31]
	v_add_f64 v[153:154], v[153:154], v[157:158]
	v_mul_f64 v[157:158], v[124:125], s[38:39]
	s_mov_b32 s31, 0x3fea55e2
	v_fma_f64 v[145:146], v[82:83], s[6:7], v[147:148]
	v_fma_f64 v[147:148], v[82:83], s[6:7], -v[147:148]
	v_add_f64 v[145:146], v[145:146], v[149:150]
	v_mul_f64 v[149:150], v[122:123], s[40:41]
	v_add_f64 v[147:148], v[147:148], v[159:160]
	v_fma_f64 v[159:160], v[82:83], s[12:13], v[157:158]
	v_fma_f64 v[157:158], v[82:83], s[12:13], -v[157:158]
	v_fma_f64 v[155:156], v[68:69], s[14:15], -v[149:150]
	v_fma_f64 v[149:150], v[68:69], s[14:15], v[149:150]
	v_add_f64 v[151:152], v[159:160], v[151:152]
	v_mul_f64 v[159:160], v[122:123], s[26:27]
	v_add_f64 v[157:158], v[157:158], v[165:166]
	v_mul_f64 v[165:166], v[124:125], s[36:37]
	v_mul_f64 v[124:125], v[124:125], s[26:27]
	v_add_f64 v[143:144], v[155:156], v[143:144]
	v_mul_f64 v[155:156], v[114:115], s[40:41]
	v_add_f64 v[149:150], v[149:150], v[153:154]
	v_fma_f64 v[178:179], v[70:71], s[14:15], v[155:156]
	v_fma_f64 v[153:154], v[70:71], s[14:15], -v[155:156]
	v_add_f64 v[145:146], v[178:179], v[145:146]
	v_mul_f64 v[178:179], v[102:103], s[26:27]
	v_add_f64 v[147:148], v[153:154], v[147:148]
	v_fma_f64 v[180:181], v[72:73], s[20:21], -v[178:179]
	v_fma_f64 v[153:154], v[72:73], s[20:21], v[178:179]
	v_add_f64 v[143:144], v[180:181], v[143:144]
	v_mul_f64 v[180:181], v[100:101], s[26:27]
	v_add_f64 v[149:150], v[153:154], v[149:150]
	v_fma_f64 v[182:183], v[74:75], s[20:21], v[180:181]
	v_fma_f64 v[153:154], v[74:75], s[20:21], -v[180:181]
	v_add_f64 v[145:146], v[182:183], v[145:146]
	v_mul_f64 v[182:183], v[98:99], s[28:29]
	v_add_f64 v[147:148], v[153:154], v[147:148]
	v_fma_f64 v[184:185], v[76:77], s[18:19], -v[182:183]
	v_fma_f64 v[153:154], v[76:77], s[18:19], v[182:183]
	;; [unrolled: 10-line block ×3, first 2 shown]
	v_add_f64 v[143:144], v[188:189], v[143:144]
	v_mul_f64 v[188:189], v[92:93], s[24:25]
	v_add_f64 v[147:148], v[147:148], v[149:150]
	v_fma_f64 v[155:156], v[86:87], s[12:13], -v[188:189]
	v_fma_f64 v[190:191], v[86:87], s[12:13], v[188:189]
	v_add_f64 v[149:150], v[155:156], v[153:154]
	v_mul_f64 v[155:156], v[126:127], s[38:39]
	v_add_f64 v[145:146], v[190:191], v[145:146]
	v_fma_f64 v[153:154], v[80:81], s[12:13], -v[155:156]
	v_fma_f64 v[155:156], v[80:81], s[12:13], v[155:156]
	v_add_f64 v[153:154], v[153:154], v[161:162]
	v_fma_f64 v[161:162], v[68:69], s[20:21], -v[159:160]
	v_add_f64 v[155:156], v[155:156], v[163:164]
	v_fma_f64 v[159:160], v[68:69], s[20:21], v[159:160]
	v_mul_f64 v[163:164], v[126:127], s[36:37]
	v_mul_f64 v[126:127], v[126:127], s[26:27]
	v_add_f64 v[153:154], v[161:162], v[153:154]
	v_mul_f64 v[161:162], v[114:115], s[26:27]
	v_add_f64 v[155:156], v[159:160], v[155:156]
	v_fma_f64 v[178:179], v[70:71], s[20:21], v[161:162]
	v_fma_f64 v[159:160], v[70:71], s[20:21], -v[161:162]
	v_add_f64 v[151:152], v[178:179], v[151:152]
	v_mul_f64 v[178:179], v[102:103], s[34:35]
	v_add_f64 v[157:158], v[159:160], v[157:158]
	v_fma_f64 v[180:181], v[72:73], s[16:17], -v[178:179]
	v_fma_f64 v[159:160], v[72:73], s[16:17], v[178:179]
	v_add_f64 v[153:154], v[180:181], v[153:154]
	v_mul_f64 v[180:181], v[100:101], s[34:35]
	s_mov_b32 s35, 0x3fcea1e5
	s_mov_b32 s34, s30
	v_add_f64 v[155:156], v[159:160], v[155:156]
	s_mov_b32 s30, s28
	v_mul_f64 v[188:189], v[94:95], s[30:31]
	v_mul_f64 v[190:191], v[92:93], s[30:31]
	v_fma_f64 v[182:183], v[74:75], s[16:17], v[180:181]
	v_fma_f64 v[159:160], v[74:75], s[16:17], -v[180:181]
	v_fma_f64 v[161:162], v[86:87], s[18:19], -v[190:191]
	v_add_f64 v[151:152], v[182:183], v[151:152]
	v_mul_f64 v[182:183], v[98:99], s[34:35]
	v_add_f64 v[157:158], v[159:160], v[157:158]
	v_fma_f64 v[184:185], v[76:77], s[6:7], -v[182:183]
	v_fma_f64 v[159:160], v[76:77], s[6:7], v[182:183]
	v_add_f64 v[153:154], v[184:185], v[153:154]
	v_mul_f64 v[184:185], v[96:97], s[34:35]
	v_add_f64 v[155:156], v[159:160], v[155:156]
	v_fma_f64 v[159:160], v[78:79], s[6:7], -v[184:185]
	v_fma_f64 v[186:187], v[78:79], s[6:7], v[184:185]
	v_add_f64 v[157:158], v[159:160], v[157:158]
	v_fma_f64 v[159:160], v[84:85], s[18:19], v[188:189]
	v_add_f64 v[186:187], v[186:187], v[151:152]
	v_fma_f64 v[151:152], v[84:85], s[18:19], -v[188:189]
	v_add_f64 v[157:158], v[161:162], v[157:158]
	v_add_f64 v[155:156], v[159:160], v[155:156]
	v_fma_f64 v[159:160], v[80:81], s[16:17], -v[163:164]
	v_fma_f64 v[161:162], v[82:83], s[16:17], v[165:166]
	v_fma_f64 v[163:164], v[80:81], s[16:17], v[163:164]
	v_add_f64 v[151:152], v[151:152], v[153:154]
	v_fma_f64 v[153:154], v[86:87], s[18:19], v[190:191]
	v_add_f64 v[159:160], v[159:160], v[167:168]
	v_mul_f64 v[167:168], v[122:123], s[28:29]
	v_add_f64 v[161:162], v[161:162], v[172:173]
	v_add_f64 v[139:140], v[163:164], v[139:140]
	v_fma_f64 v[163:164], v[82:83], s[16:17], -v[165:166]
	v_add_f64 v[153:154], v[153:154], v[186:187]
	v_mul_f64 v[122:123], v[122:123], s[24:25]
	v_fma_f64 v[172:173], v[68:69], s[18:19], -v[167:168]
	v_add_f64 v[137:138], v[163:164], v[137:138]
	v_fma_f64 v[163:164], v[68:69], s[18:19], v[167:168]
	v_add_f64 v[159:160], v[172:173], v[159:160]
	v_mul_f64 v[172:173], v[114:115], s[28:29]
	v_mul_f64 v[114:115], v[114:115], s[24:25]
	v_add_f64 v[139:140], v[163:164], v[139:140]
	v_fma_f64 v[178:179], v[70:71], s[18:19], v[172:173]
	v_fma_f64 v[163:164], v[70:71], s[18:19], -v[172:173]
	v_lshlrev_b32_e32 v172, 4, v142
	v_add_f64 v[161:162], v[178:179], v[161:162]
	v_mul_f64 v[178:179], v[102:103], s[34:35]
	v_add_f64 v[137:138], v[163:164], v[137:138]
	v_mul_f64 v[102:103], v[102:103], s[30:31]
	v_fma_f64 v[180:181], v[72:73], s[6:7], -v[178:179]
	v_fma_f64 v[163:164], v[72:73], s[6:7], v[178:179]
	v_add_f64 v[159:160], v[180:181], v[159:160]
	v_mul_f64 v[180:181], v[100:101], s[34:35]
	v_add_f64 v[139:140], v[163:164], v[139:140]
	v_mul_f64 v[100:101], v[100:101], s[30:31]
	v_fma_f64 v[182:183], v[74:75], s[6:7], v[180:181]
	v_fma_f64 v[163:164], v[74:75], s[6:7], -v[180:181]
	v_add_f64 v[161:162], v[182:183], v[161:162]
	v_mul_f64 v[182:183], v[98:99], s[26:27]
	v_add_f64 v[137:138], v[163:164], v[137:138]
	v_mul_f64 v[98:99], v[98:99], s[22:23]
	v_fma_f64 v[184:185], v[76:77], s[20:21], -v[182:183]
	v_fma_f64 v[163:164], v[76:77], s[20:21], v[182:183]
	v_add_f64 v[159:160], v[184:185], v[159:160]
	v_mul_f64 v[184:185], v[96:97], s[26:27]
	v_add_f64 v[139:140], v[163:164], v[139:140]
	v_mul_f64 v[96:97], v[96:97], s[22:23]
	v_fma_f64 v[186:187], v[78:79], s[20:21], v[184:185]
	v_fma_f64 v[163:164], v[78:79], s[20:21], -v[184:185]
	v_add_f64 v[161:162], v[186:187], v[161:162]
	v_mul_f64 v[186:187], v[94:95], s[22:23]
	v_add_f64 v[163:164], v[163:164], v[137:138]
	v_fma_f64 v[188:189], v[84:85], s[14:15], -v[186:187]
	v_fma_f64 v[137:138], v[84:85], s[14:15], v[186:187]
	v_add_f64 v[159:160], v[188:189], v[159:160]
	v_mul_f64 v[188:189], v[92:93], s[22:23]
	v_add_f64 v[137:138], v[137:138], v[139:140]
	v_fma_f64 v[165:166], v[86:87], s[14:15], -v[188:189]
	v_fma_f64 v[190:191], v[86:87], s[14:15], v[188:189]
	v_add_f64 v[139:140], v[165:166], v[163:164]
	v_fma_f64 v[163:164], v[80:81], s[20:21], -v[126:127]
	v_fma_f64 v[126:127], v[80:81], s[20:21], v[126:127]
	v_fma_f64 v[80:81], v[80:81], s[18:19], v[104:105]
	v_mul_f64 v[165:166], v[92:93], s[36:37]
	v_add_f64 v[161:162], v[190:191], v[161:162]
	v_add_f64 v[134:135], v[163:164], v[134:135]
	v_fma_f64 v[163:164], v[82:83], s[20:21], v[124:125]
	v_fma_f64 v[124:125], v[82:83], s[20:21], -v[124:125]
	v_fma_f64 v[82:83], v[82:83], s[18:19], -v[106:107]
	v_add_f64 v[80:81], v[80:81], v[88:89]
	v_add_f64 v[126:127], v[126:127], v[130:131]
	;; [unrolled: 1-line block ×3, first 2 shown]
	v_fma_f64 v[163:164], v[68:69], s[12:13], -v[122:123]
	v_fma_f64 v[122:123], v[68:69], s[12:13], v[122:123]
	v_fma_f64 v[68:69], v[68:69], s[16:17], v[108:109]
	v_add_f64 v[82:83], v[82:83], v[90:91]
	v_add_f64 v[124:125], v[124:125], v[128:129]
                                        ; implicit-def: $vgpr108_vgpr109
	v_add_f64 v[134:135], v[163:164], v[134:135]
	v_fma_f64 v[163:164], v[70:71], s[12:13], v[114:115]
	v_fma_f64 v[114:115], v[70:71], s[12:13], -v[114:115]
	v_fma_f64 v[70:71], v[70:71], s[16:17], -v[110:111]
	v_add_f64 v[68:69], v[68:69], v[80:81]
	v_add_f64 v[122:123], v[122:123], v[126:127]
	;; [unrolled: 1-line block ×3, first 2 shown]
	v_fma_f64 v[163:164], v[72:73], s[18:19], -v[102:103]
	v_fma_f64 v[102:103], v[72:73], s[18:19], v[102:103]
	v_fma_f64 v[72:73], v[72:73], s[14:15], v[112:113]
	v_add_f64 v[70:71], v[70:71], v[82:83]
	v_add_f64 v[114:115], v[114:115], v[124:125]
	;; [unrolled: 1-line block ×3, first 2 shown]
	v_fma_f64 v[163:164], v[74:75], s[18:19], v[100:101]
	v_fma_f64 v[100:101], v[74:75], s[18:19], -v[100:101]
	v_fma_f64 v[74:75], v[74:75], s[14:15], -v[116:117]
	v_add_f64 v[68:69], v[72:73], v[68:69]
	v_add_f64 v[102:103], v[102:103], v[122:123]
	v_fma_f64 v[72:73], v[84:85], s[6:7], v[174:175]
	v_add_f64 v[132:133], v[163:164], v[132:133]
	v_fma_f64 v[163:164], v[76:77], s[14:15], -v[98:99]
	v_fma_f64 v[98:99], v[76:77], s[14:15], v[98:99]
	v_fma_f64 v[76:77], v[76:77], s[12:13], v[118:119]
	v_add_f64 v[70:71], v[74:75], v[70:71]
	v_add_f64 v[100:101], v[100:101], v[114:115]
	v_fma_f64 v[74:75], v[86:87], s[6:7], -v[176:177]
	v_add_f64 v[134:135], v[163:164], v[134:135]
	v_fma_f64 v[163:164], v[78:79], s[14:15], v[96:97]
	v_fma_f64 v[96:97], v[78:79], s[14:15], -v[96:97]
	v_fma_f64 v[78:79], v[78:79], s[12:13], -v[120:121]
	v_add_f64 v[68:69], v[76:77], v[68:69]
	v_add_f64 v[98:99], v[98:99], v[102:103]
	v_fma_f64 v[102:103], v[86:87], s[16:17], -v[165:166]
	v_add_f64 v[132:133], v[163:164], v[132:133]
	v_mul_f64 v[163:164], v[94:95], s[36:37]
	v_add_f64 v[70:71], v[78:79], v[70:71]
	v_fma_f64 v[94:95], v[86:87], s[16:17], v[165:166]
	v_add_f64 v[100:101], v[96:97], v[100:101]
	v_fma_f64 v[92:93], v[84:85], s[16:17], -v[163:164]
	v_fma_f64 v[96:97], v[84:85], s[16:17], v[163:164]
	v_add_f64 v[84:85], v[72:73], v[68:69]
	v_add_f64 v[86:87], v[74:75], v[70:71]
	;; [unrolled: 1-line block ×3, first 2 shown]
	v_mul_u32_u24_e32 v68, 13, v169
	v_add_lshl_u32 v173, v142, v68, 4
	v_add_f64 v[92:93], v[92:93], v[134:135]
	v_add_f64 v[96:97], v[96:97], v[98:99]
	;; [unrolled: 1-line block ×3, first 2 shown]
	ds_write_b128 v173, v[52:55] offset:16
	ds_write_b128 v173, v[64:67] offset:32
	;; [unrolled: 1-line block ×11, first 2 shown]
	ds_write_b128 v173, v[56:59]
	ds_write_b128 v173, v[84:87] offset:192
	s_waitcnt lgkmcnt(0)
	s_barrier
	buffer_gl0_inv
	ds_read_b128 v[88:91], v171
	ds_read_b128 v[92:95], v170 offset:32
	ds_read_b128 v[112:115], v170 offset:208
	;; [unrolled: 1-line block ×11, first 2 shown]
	v_add_co_u32 v137, s6, s8, v141
	v_add_co_ci_u32_e64 v138, null, s9, 0, s6
	v_mov_b32_e32 v52, 0
	v_mov_b32_e32 v53, 0
	s_and_saveexec_b32 s6, vcc_lo
	s_cbranch_execz .LBB0_3
; %bb.2:
	ds_read_b128 v[84:87], v172 offset:192
	ds_read_b128 v[108:111], v172 offset:400
	v_mov_b32_e32 v52, 12
	v_mov_b32_e32 v53, 0
.LBB0_3:
	s_or_b32 exec_lo, exec_lo, s6
	s_clause 0x5
	global_load_dwordx4 v[56:59], v141, s[10:11]
	global_load_dwordx4 v[60:63], v141, s[10:11] offset:32
	global_load_dwordx4 v[64:67], v141, s[10:11] offset:64
	;; [unrolled: 1-line block ×5, first 2 shown]
	v_lshlrev_b32_e32 v52, 4, v52
	global_load_dwordx4 v[52:55], v52, s[10:11]
	s_waitcnt vmcnt(6) lgkmcnt(9)
	v_mul_f64 v[139:140], v[114:115], v[58:59]
	v_mul_f64 v[142:143], v[112:113], v[58:59]
	s_waitcnt vmcnt(5) lgkmcnt(8)
	v_mul_f64 v[144:145], v[118:119], v[62:63]
	v_mul_f64 v[146:147], v[116:117], v[62:63]
	s_waitcnt vmcnt(4) lgkmcnt(5)
	v_mul_f64 v[148:149], v[126:127], v[66:67]
	v_mul_f64 v[150:151], v[124:125], v[66:67]
	s_waitcnt vmcnt(3) lgkmcnt(4)
	v_mul_f64 v[152:153], v[122:123], v[70:71]
	v_mul_f64 v[154:155], v[120:121], v[70:71]
	s_waitcnt vmcnt(2) lgkmcnt(1)
	v_mul_f64 v[156:157], v[134:135], v[78:79]
	v_mul_f64 v[158:159], v[132:133], v[78:79]
	s_waitcnt vmcnt(1) lgkmcnt(0)
	v_mul_f64 v[160:161], v[130:131], v[82:83]
	v_mul_f64 v[162:163], v[128:129], v[82:83]
	v_fma_f64 v[112:113], v[112:113], v[56:57], -v[139:140]
	v_fma_f64 v[114:115], v[114:115], v[56:57], v[142:143]
	v_fma_f64 v[116:117], v[116:117], v[60:61], -v[144:145]
	v_fma_f64 v[118:119], v[118:119], v[60:61], v[146:147]
	;; [unrolled: 2-line block ×6, first 2 shown]
	s_waitcnt vmcnt(0)
	v_mul_f64 v[148:149], v[110:111], v[54:55]
	v_mul_f64 v[150:151], v[108:109], v[54:55]
	v_add_f64 v[112:113], v[88:89], -v[112:113]
	v_add_f64 v[114:115], v[90:91], -v[114:115]
	;; [unrolled: 1-line block ×12, first 2 shown]
	v_fma_f64 v[139:140], v[108:109], v[52:53], -v[148:149]
	v_fma_f64 v[142:143], v[110:111], v[52:53], v[150:151]
	v_fma_f64 v[88:89], v[88:89], 2.0, -v[112:113]
	v_fma_f64 v[90:91], v[90:91], 2.0, -v[114:115]
	v_fma_f64 v[92:93], v[92:93], 2.0, -v[116:117]
	v_fma_f64 v[94:95], v[94:95], 2.0, -v[118:119]
	v_fma_f64 v[96:97], v[96:97], 2.0, -v[120:121]
	v_fma_f64 v[98:99], v[98:99], 2.0, -v[122:123]
	v_fma_f64 v[100:101], v[100:101], 2.0, -v[124:125]
	v_fma_f64 v[102:103], v[102:103], 2.0, -v[126:127]
	v_fma_f64 v[104:105], v[104:105], 2.0, -v[128:129]
	v_fma_f64 v[106:107], v[106:107], 2.0, -v[130:131]
	v_fma_f64 v[108:109], v[72:73], 2.0, -v[132:133]
	v_fma_f64 v[110:111], v[74:75], 2.0, -v[134:135]
	v_add_f64 v[72:73], v[84:85], -v[139:140]
	v_add_f64 v[74:75], v[86:87], -v[142:143]
	ds_write_b128 v171, v[88:91]
	ds_write_b128 v170, v[112:115] offset:208
	ds_write_b128 v170, v[92:95] offset:32
	;; [unrolled: 1-line block ×11, first 2 shown]
	s_and_saveexec_b32 s6, vcc_lo
	s_cbranch_execz .LBB0_5
; %bb.4:
	v_fma_f64 v[86:87], v[86:87], 2.0, -v[74:75]
	v_fma_f64 v[84:85], v[84:85], 2.0, -v[72:73]
	ds_write_b128 v172, v[84:87] offset:192
	ds_write_b128 v172, v[72:75] offset:400
.LBB0_5:
	s_or_b32 exec_lo, exec_lo, s6
	s_waitcnt lgkmcnt(0)
	s_barrier
	buffer_gl0_inv
	global_load_dwordx4 v[84:87], v[137:138], off offset:416
	s_add_u32 s6, s8, 0x1a0
	s_addc_u32 s7, s9, 0
	s_clause 0x7
	global_load_dwordx4 v[88:91], v141, s[6:7] offset:32
	global_load_dwordx4 v[92:95], v141, s[6:7] offset:64
	;; [unrolled: 1-line block ×8, first 2 shown]
	ds_read_b128 v[120:123], v171
	v_add_nc_u32_e32 v174, v172, v141
	s_mov_b32 s36, 0x4267c47c
	s_mov_b32 s14, 0x42a4c3d2
	;; [unrolled: 1-line block ×32, first 2 shown]
	s_waitcnt vmcnt(8) lgkmcnt(0)
	v_mul_f64 v[124:125], v[122:123], v[86:87]
	v_mul_f64 v[86:87], v[120:121], v[86:87]
	v_fma_f64 v[120:121], v[120:121], v[84:85], -v[124:125]
	v_fma_f64 v[122:123], v[122:123], v[84:85], v[86:87]
	ds_write_b128 v171, v[120:123]
	ds_read_b128 v[84:87], v170 offset:32
	ds_read_b128 v[120:123], v170 offset:64
	;; [unrolled: 1-line block ×3, first 2 shown]
	s_waitcnt vmcnt(7) lgkmcnt(2)
	v_mul_f64 v[128:129], v[86:87], v[90:91]
	v_mul_f64 v[90:91], v[84:85], v[90:91]
	s_waitcnt vmcnt(6) lgkmcnt(1)
	v_mul_f64 v[130:131], v[122:123], v[94:95]
	v_mul_f64 v[94:95], v[120:121], v[94:95]
	v_fma_f64 v[84:85], v[84:85], v[88:89], -v[128:129]
	v_fma_f64 v[86:87], v[86:87], v[88:89], v[90:91]
	ds_read_b128 v[88:91], v170 offset:128
	s_waitcnt vmcnt(5) lgkmcnt(1)
	v_mul_f64 v[128:129], v[126:127], v[98:99]
	v_mul_f64 v[98:99], v[124:125], v[98:99]
	v_fma_f64 v[120:121], v[120:121], v[92:93], -v[130:131]
	v_fma_f64 v[122:123], v[122:123], v[92:93], v[94:95]
	ds_read_b128 v[92:95], v170 offset:160
	;; [unrolled: 6-line block ×4, first 2 shown]
	ds_read_b128 v[128:131], v170 offset:384
	v_fma_f64 v[92:93], v[92:93], v[104:105], -v[132:133]
	v_fma_f64 v[94:95], v[94:95], v[104:105], v[106:107]
	s_waitcnt vmcnt(1) lgkmcnt(2)
	v_mul_f64 v[132:133], v[98:99], v[114:115]
	v_mul_f64 v[114:115], v[96:97], v[114:115]
	s_waitcnt lgkmcnt(1)
	v_mul_f64 v[104:105], v[102:103], v[110:111]
	v_mul_f64 v[106:107], v[100:101], v[110:111]
	v_fma_f64 v[96:97], v[96:97], v[112:113], -v[132:133]
	v_fma_f64 v[98:99], v[98:99], v[112:113], v[114:115]
	ds_read_b128 v[112:115], v170 offset:288
	v_fma_f64 v[100:101], v[100:101], v[108:109], -v[104:105]
	v_fma_f64 v[102:103], v[102:103], v[108:109], v[106:107]
	ds_read_b128 v[108:111], v170 offset:256
	global_load_dwordx4 v[104:107], v141, s[6:7] offset:288
	s_waitcnt vmcnt(1) lgkmcnt(0)
	v_mul_f64 v[132:133], v[110:111], v[118:119]
	v_mul_f64 v[118:119], v[108:109], v[118:119]
	v_fma_f64 v[108:109], v[108:109], v[116:117], -v[132:133]
	v_fma_f64 v[110:111], v[110:111], v[116:117], v[118:119]
	global_load_dwordx4 v[116:119], v141, s[6:7] offset:320
	s_waitcnt vmcnt(1)
	v_mul_f64 v[132:133], v[114:115], v[106:107]
	v_mul_f64 v[106:107], v[112:113], v[106:107]
	v_fma_f64 v[112:113], v[112:113], v[104:105], -v[132:133]
	v_fma_f64 v[114:115], v[114:115], v[104:105], v[106:107]
	ds_read_b128 v[104:107], v170 offset:320
	ds_read_b128 v[132:135], v170 offset:352
	s_waitcnt vmcnt(0) lgkmcnt(1)
	v_mul_f64 v[137:138], v[106:107], v[118:119]
	v_mul_f64 v[118:119], v[104:105], v[118:119]
	v_fma_f64 v[104:105], v[104:105], v[116:117], -v[137:138]
	v_fma_f64 v[106:107], v[106:107], v[116:117], v[118:119]
	s_clause 0x1
	global_load_dwordx4 v[116:119], v141, s[6:7] offset:352
	global_load_dwordx4 v[137:140], v141, s[6:7] offset:384
	s_mov_b32 s6, 0x4bc48dbf
	s_mov_b32 s7, 0xbfcea1e5
	s_mov_b32 s42, s6
	s_waitcnt vmcnt(1) lgkmcnt(0)
	v_mul_f64 v[141:142], v[134:135], v[118:119]
	v_mul_f64 v[118:119], v[132:133], v[118:119]
	v_fma_f64 v[132:133], v[132:133], v[116:117], -v[141:142]
	v_fma_f64 v[134:135], v[134:135], v[116:117], v[118:119]
	s_waitcnt vmcnt(0)
	v_mul_f64 v[116:117], v[130:131], v[139:140]
	v_mul_f64 v[118:119], v[128:129], v[139:140]
	v_fma_f64 v[116:117], v[128:129], v[137:138], -v[116:117]
	v_fma_f64 v[118:119], v[130:131], v[137:138], v[118:119]
	ds_write_b128 v170, v[84:87] offset:32
	ds_write_b128 v170, v[120:123] offset:64
	;; [unrolled: 1-line block ×12, first 2 shown]
	s_waitcnt lgkmcnt(0)
	s_barrier
	buffer_gl0_inv
	ds_read_b128 v[84:87], v171
	ds_read_b128 v[88:91], v170 offset:32
	ds_read_b128 v[92:95], v170 offset:64
	;; [unrolled: 1-line block ×3, first 2 shown]
	s_waitcnt lgkmcnt(2)
	v_add_f64 v[100:101], v[84:85], v[88:89]
	v_add_f64 v[102:103], v[86:87], v[90:91]
	s_waitcnt lgkmcnt(1)
	v_add_f64 v[100:101], v[100:101], v[92:93]
	v_add_f64 v[102:103], v[102:103], v[94:95]
	;; [unrolled: 3-line block ×3, first 2 shown]
	ds_read_b128 v[100:103], v170 offset:128
	ds_read_b128 v[104:107], v170 offset:160
	s_waitcnt lgkmcnt(1)
	v_add_f64 v[108:109], v[108:109], v[100:101]
	v_add_f64 v[110:111], v[110:111], v[102:103]
	s_waitcnt lgkmcnt(0)
	v_add_f64 v[112:113], v[108:109], v[104:105]
	v_add_f64 v[114:115], v[110:111], v[106:107]
	ds_read_b128 v[108:111], v174 offset:192
	s_waitcnt lgkmcnt(0)
	v_add_f64 v[120:121], v[112:113], v[108:109]
	v_add_f64 v[122:123], v[114:115], v[110:111]
	ds_read_b128 v[116:119], v170 offset:224
	ds_read_b128 v[112:115], v170 offset:256
	s_waitcnt lgkmcnt(1)
	v_add_f64 v[137:138], v[110:111], v[118:119]
	v_add_f64 v[120:121], v[120:121], v[116:117]
	;; [unrolled: 1-line block ×3, first 2 shown]
	v_add_f64 v[139:140], v[110:111], -v[118:119]
	s_waitcnt lgkmcnt(0)
	v_add_f64 v[141:142], v[106:107], v[114:115]
	v_add_f64 v[143:144], v[106:107], -v[114:115]
	v_add_f64 v[110:111], v[104:105], v[112:113]
	v_add_f64 v[104:105], v[104:105], -v[112:113]
	v_add_f64 v[120:121], v[120:121], v[112:113]
	v_add_f64 v[130:131], v[122:123], v[114:115]
	ds_read_b128 v[122:125], v170 offset:288
	ds_read_b128 v[126:129], v170 offset:320
	v_mul_f64 v[219:220], v[141:142], s[22:23]
	v_mul_f64 v[217:218], v[143:144], s[26:27]
	;; [unrolled: 1-line block ×3, first 2 shown]
	s_waitcnt lgkmcnt(1)
	v_add_f64 v[145:146], v[102:103], v[124:125]
	v_add_f64 v[132:133], v[120:121], v[122:123]
	;; [unrolled: 1-line block ×3, first 2 shown]
	v_add_f64 v[147:148], v[102:103], -v[124:125]
	s_waitcnt lgkmcnt(0)
	v_add_f64 v[102:103], v[96:97], v[126:127]
	v_add_f64 v[96:97], v[96:97], -v[126:127]
	v_add_f64 v[120:121], v[108:109], v[116:117]
	v_add_f64 v[108:109], v[108:109], -v[116:117]
	;; [unrolled: 2-line block ×3, first 2 shown]
	ds_read_b128 v[114:117], v170 offset:352
	ds_read_b128 v[122:125], v170 offset:384
	v_add_f64 v[149:150], v[98:99], v[128:129]
	v_add_f64 v[151:152], v[98:99], -v[128:129]
	s_waitcnt lgkmcnt(0)
	s_barrier
	buffer_gl0_inv
	v_mul_f64 v[215:216], v[145:146], s[18:19]
	v_add_f64 v[118:119], v[132:133], v[126:127]
	v_add_f64 v[126:127], v[130:131], v[128:129]
	v_mul_f64 v[213:214], v[147:148], s[40:41]
	v_add_f64 v[98:99], v[92:93], v[114:115]
	v_add_f64 v[153:154], v[94:95], v[116:117]
	v_add_f64 v[112:113], v[92:93], -v[114:115]
	v_add_f64 v[155:156], v[94:95], -v[116:117]
	v_mul_f64 v[211:212], v[149:150], s[16:17]
	v_mul_f64 v[209:210], v[151:152], s[6:7]
	v_add_f64 v[92:93], v[118:119], v[114:115]
	v_add_f64 v[94:95], v[126:127], v[116:117]
	v_add_f64 v[114:115], v[90:91], -v[124:125]
	v_add_f64 v[116:117], v[88:89], v[122:123]
	v_add_f64 v[118:119], v[90:91], v[124:125]
	v_add_f64 v[126:127], v[88:89], -v[122:123]
	v_add_f64 v[88:89], v[92:93], v[122:123]
	v_add_f64 v[90:91], v[94:95], v[124:125]
	v_mul_f64 v[92:93], v[114:115], s[36:37]
	v_mul_f64 v[94:95], v[114:115], s[14:15]
	;; [unrolled: 1-line block ×9, first 2 shown]
	v_fma_f64 v[130:131], v[116:117], s[28:29], v[92:93]
	v_fma_f64 v[92:93], v[116:117], s[28:29], -v[92:93]
	v_fma_f64 v[132:133], v[116:117], s[24:25], v[94:95]
	v_fma_f64 v[94:95], v[116:117], s[24:25], -v[94:95]
	;; [unrolled: 2-line block ×6, first 2 shown]
	v_mul_f64 v[114:115], v[118:119], s[28:29]
	v_mul_f64 v[116:117], v[118:119], s[24:25]
	;; [unrolled: 1-line block ×3, first 2 shown]
	v_fma_f64 v[185:186], v[126:127], s[26:27], v[163:164]
	v_fma_f64 v[163:164], v[126:127], s[12:13], v[163:164]
	;; [unrolled: 1-line block ×6, first 2 shown]
	v_add_f64 v[94:95], v[84:85], v[94:95]
	v_add_f64 v[195:196], v[84:85], v[157:158]
	;; [unrolled: 1-line block ×5, first 2 shown]
	v_mul_f64 v[124:125], v[151:152], s[12:13]
	v_add_f64 v[159:160], v[84:85], v[165:166]
	v_fma_f64 v[177:178], v[126:127], s[34:35], v[114:115]
	v_fma_f64 v[179:180], v[126:127], s[36:37], v[114:115]
	;; [unrolled: 1-line block ×6, first 2 shown]
	v_add_f64 v[126:127], v[84:85], v[130:131]
	v_add_f64 v[114:115], v[84:85], v[92:93]
	v_add_f64 v[92:93], v[84:85], v[132:133]
	v_add_f64 v[193:194], v[86:87], v[163:164]
	v_add_f64 v[163:164], v[84:85], v[161:162]
	v_add_f64 v[187:188], v[86:87], v[187:188]
	v_add_f64 v[199:200], v[86:87], v[167:168]
	v_add_f64 v[203:204], v[86:87], v[189:190]
	v_add_f64 v[207:208], v[86:87], v[175:176]
	v_mul_f64 v[189:190], v[155:156], s[10:11]
	v_add_f64 v[130:131], v[86:87], v[177:178]
	v_add_f64 v[116:117], v[86:87], v[179:180]
	;; [unrolled: 1-line block ×4, first 2 shown]
	v_mul_f64 v[118:119], v[155:156], s[14:15]
	v_add_f64 v[177:178], v[86:87], v[181:182]
	v_add_f64 v[179:180], v[86:87], v[183:184]
	;; [unrolled: 1-line block ×5, first 2 shown]
	v_mul_f64 v[122:123], v[153:154], s[24:25]
	v_mul_f64 v[191:192], v[153:154], s[20:21]
	v_fma_f64 v[84:85], v[98:99], s[24:25], v[118:119]
	v_fma_f64 v[86:87], v[112:113], s[30:31], v[122:123]
	v_add_f64 v[84:85], v[84:85], v[126:127]
	v_fma_f64 v[126:127], v[102:103], s[22:23], v[124:125]
	v_add_f64 v[86:87], v[86:87], v[130:131]
	v_add_f64 v[84:85], v[126:127], v[84:85]
	v_mul_f64 v[126:127], v[149:150], s[22:23]
	v_fma_f64 v[128:129], v[96:97], s[26:27], v[126:127]
	v_add_f64 v[86:87], v[128:129], v[86:87]
	v_mul_f64 v[128:129], v[147:148], s[10:11]
	v_fma_f64 v[130:131], v[106:107], s[20:21], v[128:129]
	;; [unrolled: 3-line block ×7, first 2 shown]
	v_add_f64 v[86:87], v[175:176], v[86:87]
	v_fma_f64 v[175:176], v[98:99], s[20:21], v[189:190]
	v_fma_f64 v[189:190], v[98:99], s[20:21], -v[189:190]
	v_add_f64 v[92:93], v[175:176], v[92:93]
	v_fma_f64 v[175:176], v[112:113], s[38:39], v[191:192]
	v_add_f64 v[94:95], v[189:190], v[94:95]
	v_fma_f64 v[189:190], v[112:113], s[10:11], v[191:192]
	v_add_f64 v[175:176], v[175:176], v[177:178]
	v_fma_f64 v[177:178], v[102:103], s[16:17], v[209:210]
	v_add_f64 v[179:180], v[189:190], v[179:180]
	v_fma_f64 v[189:190], v[102:103], s[16:17], -v[209:210]
	v_add_f64 v[92:93], v[177:178], v[92:93]
	v_fma_f64 v[177:178], v[96:97], s[42:43], v[211:212]
	v_add_f64 v[94:95], v[189:190], v[94:95]
	v_fma_f64 v[189:190], v[96:97], s[6:7], v[211:212]
	v_add_f64 v[175:176], v[177:178], v[175:176]
	v_fma_f64 v[177:178], v[106:107], s[18:19], v[213:214]
	v_add_f64 v[179:180], v[189:190], v[179:180]
	;; [unrolled: 8-line block ×4, first 2 shown]
	v_fma_f64 v[189:190], v[120:121], s[28:29], -v[221:222]
	v_add_f64 v[175:176], v[175:176], v[92:93]
	v_mul_f64 v[92:93], v[137:138], s[28:29]
	v_fma_f64 v[223:224], v[108:109], s[36:37], v[92:93]
	v_fma_f64 v[191:192], v[108:109], s[34:35], v[92:93]
	v_add_f64 v[92:93], v[189:190], v[94:95]
	v_mul_f64 v[189:190], v[155:156], s[6:7]
	v_add_f64 v[177:178], v[223:224], v[177:178]
	v_add_f64 v[94:95], v[191:192], v[179:180]
	v_mul_f64 v[191:192], v[153:154], s[16:17]
	v_fma_f64 v[179:180], v[98:99], s[16:17], v[189:190]
	v_fma_f64 v[189:190], v[98:99], s[16:17], -v[189:190]
	v_add_f64 v[179:180], v[179:180], v[181:182]
	v_fma_f64 v[181:182], v[112:113], s[42:43], v[191:192]
	v_add_f64 v[185:186], v[189:190], v[185:186]
	v_fma_f64 v[189:190], v[112:113], s[6:7], v[191:192]
	v_add_f64 v[181:182], v[181:182], v[183:184]
	v_mul_f64 v[183:184], v[151:152], s[38:39]
	v_add_f64 v[189:190], v[189:190], v[193:194]
	v_mul_f64 v[193:194], v[153:154], s[18:19]
	v_fma_f64 v[209:210], v[102:103], s[20:21], v[183:184]
	v_fma_f64 v[183:184], v[102:103], s[20:21], -v[183:184]
	v_add_f64 v[179:180], v[209:210], v[179:180]
	v_mul_f64 v[209:210], v[149:150], s[20:21]
	v_add_f64 v[183:184], v[183:184], v[185:186]
	v_fma_f64 v[211:212], v[96:97], s[10:11], v[209:210]
	v_fma_f64 v[185:186], v[96:97], s[38:39], v[209:210]
	v_add_f64 v[181:182], v[211:212], v[181:182]
	v_mul_f64 v[211:212], v[147:148], s[34:35]
	v_add_f64 v[185:186], v[185:186], v[189:190]
	v_fma_f64 v[213:214], v[106:107], s[28:29], v[211:212]
	v_fma_f64 v[189:190], v[106:107], s[28:29], -v[211:212]
	v_add_f64 v[179:180], v[213:214], v[179:180]
	v_mul_f64 v[213:214], v[145:146], s[28:29]
	v_add_f64 v[183:184], v[189:190], v[183:184]
	v_fma_f64 v[215:216], v[100:101], s[36:37], v[213:214]
	v_fma_f64 v[189:190], v[100:101], s[34:35], v[213:214]
	v_add_f64 v[181:182], v[215:216], v[181:182]
	v_mul_f64 v[215:216], v[143:144], s[14:15]
	v_add_f64 v[185:186], v[189:190], v[185:186]
	;; [unrolled: 10-line block ×3, first 2 shown]
	v_fma_f64 v[221:222], v[120:121], s[18:19], v[219:220]
	v_fma_f64 v[189:190], v[120:121], s[18:19], -v[219:220]
	v_add_f64 v[179:180], v[221:222], v[179:180]
	v_mul_f64 v[221:222], v[137:138], s[18:19]
	v_add_f64 v[183:184], v[189:190], v[183:184]
	v_fma_f64 v[191:192], v[108:109], s[8:9], v[221:222]
	v_fma_f64 v[223:224], v[108:109], s[40:41], v[221:222]
	v_mul_f64 v[221:222], v[139:140], s[30:31]
	v_add_f64 v[185:186], v[191:192], v[185:186]
	v_mul_f64 v[191:192], v[155:156], s[40:41]
	v_add_f64 v[181:182], v[223:224], v[181:182]
	v_mul_f64 v[223:224], v[137:138], s[24:25]
	v_fma_f64 v[189:190], v[98:99], s[18:19], v[191:192]
	v_fma_f64 v[191:192], v[98:99], s[18:19], -v[191:192]
	v_add_f64 v[189:190], v[189:190], v[195:196]
	v_fma_f64 v[195:196], v[112:113], s[8:9], v[193:194]
	v_add_f64 v[191:192], v[191:192], v[197:198]
	v_fma_f64 v[193:194], v[112:113], s[40:41], v[193:194]
	v_fma_f64 v[197:198], v[108:109], s[30:31], v[223:224]
	v_add_f64 v[187:188], v[195:196], v[187:188]
	v_mul_f64 v[195:196], v[151:152], s[34:35]
	v_add_f64 v[193:194], v[193:194], v[199:200]
	v_mul_f64 v[199:200], v[155:156], s[26:27]
	v_mul_f64 v[155:156], v[155:156], s[34:35]
	v_fma_f64 v[209:210], v[102:103], s[28:29], v[195:196]
	v_fma_f64 v[195:196], v[102:103], s[28:29], -v[195:196]
	v_add_f64 v[189:190], v[209:210], v[189:190]
	v_mul_f64 v[209:210], v[149:150], s[28:29]
	v_add_f64 v[191:192], v[195:196], v[191:192]
	v_fma_f64 v[211:212], v[96:97], s[36:37], v[209:210]
	v_fma_f64 v[195:196], v[96:97], s[34:35], v[209:210]
	v_add_f64 v[187:188], v[211:212], v[187:188]
	v_mul_f64 v[211:212], v[147:148], s[12:13]
	v_add_f64 v[193:194], v[195:196], v[193:194]
	v_fma_f64 v[213:214], v[106:107], s[22:23], v[211:212]
	v_fma_f64 v[195:196], v[106:107], s[22:23], -v[211:212]
	v_add_f64 v[189:190], v[213:214], v[189:190]
	v_mul_f64 v[213:214], v[145:146], s[22:23]
	v_add_f64 v[191:192], v[195:196], v[191:192]
	v_fma_f64 v[215:216], v[100:101], s[26:27], v[213:214]
	v_fma_f64 v[195:196], v[100:101], s[12:13], v[213:214]
	v_add_f64 v[187:188], v[215:216], v[187:188]
	v_mul_f64 v[215:216], v[143:144], s[42:43]
	v_add_f64 v[193:194], v[195:196], v[193:194]
	v_fma_f64 v[217:218], v[110:111], s[16:17], v[215:216]
	v_fma_f64 v[195:196], v[110:111], s[16:17], -v[215:216]
	v_add_f64 v[189:190], v[217:218], v[189:190]
	v_mul_f64 v[217:218], v[141:142], s[16:17]
	v_add_f64 v[191:192], v[195:196], v[191:192]
	v_fma_f64 v[195:196], v[104:105], s[42:43], v[217:218]
	v_fma_f64 v[219:220], v[104:105], s[6:7], v[217:218]
	v_add_f64 v[193:194], v[195:196], v[193:194]
	v_fma_f64 v[195:196], v[120:121], s[24:25], -v[221:222]
	v_add_f64 v[219:220], v[219:220], v[187:188]
	v_fma_f64 v[187:188], v[120:121], s[24:25], v[221:222]
	v_add_f64 v[193:194], v[197:198], v[193:194]
	v_add_f64 v[191:192], v[195:196], v[191:192]
	v_fma_f64 v[195:196], v[98:99], s[22:23], v[199:200]
	v_fma_f64 v[199:200], v[98:99], s[22:23], -v[199:200]
	v_add_f64 v[187:188], v[187:188], v[189:190]
	v_fma_f64 v[189:190], v[108:109], s[14:15], v[223:224]
	v_add_f64 v[195:196], v[195:196], v[201:202]
	v_mul_f64 v[201:202], v[153:154], s[22:23]
	v_add_f64 v[199:200], v[199:200], v[205:206]
	v_add_f64 v[189:190], v[189:190], v[219:220]
	v_mul_f64 v[153:154], v[153:154], s[28:29]
	v_fma_f64 v[197:198], v[112:113], s[12:13], v[201:202]
	v_fma_f64 v[201:202], v[112:113], s[26:27], v[201:202]
	v_add_f64 v[197:198], v[197:198], v[203:204]
	v_mul_f64 v[203:204], v[151:152], s[14:15]
	v_add_f64 v[201:202], v[201:202], v[207:208]
	v_mul_f64 v[151:152], v[151:152], s[8:9]
	v_fma_f64 v[209:210], v[102:103], s[24:25], v[203:204]
	v_fma_f64 v[203:204], v[102:103], s[24:25], -v[203:204]
	v_add_f64 v[195:196], v[209:210], v[195:196]
	v_mul_f64 v[209:210], v[149:150], s[24:25]
	v_add_f64 v[199:200], v[203:204], v[199:200]
	v_mul_f64 v[149:150], v[149:150], s[18:19]
	v_fma_f64 v[211:212], v[96:97], s[30:31], v[209:210]
	v_fma_f64 v[203:204], v[96:97], s[14:15], v[209:210]
	v_add_f64 v[197:198], v[211:212], v[197:198]
	v_mul_f64 v[211:212], v[147:148], s[42:43]
	v_add_f64 v[201:202], v[203:204], v[201:202]
	v_mul_f64 v[147:148], v[147:148], s[30:31]
	v_fma_f64 v[213:214], v[106:107], s[16:17], v[211:212]
	v_fma_f64 v[203:204], v[106:107], s[16:17], -v[211:212]
	v_add_f64 v[195:196], v[213:214], v[195:196]
	v_mul_f64 v[213:214], v[145:146], s[16:17]
	;; [unrolled: 12-line block ×3, first 2 shown]
	v_add_f64 v[199:200], v[203:204], v[199:200]
	v_mul_f64 v[141:142], v[141:142], s[20:21]
	v_fma_f64 v[219:220], v[104:105], s[36:37], v[217:218]
	v_fma_f64 v[203:204], v[104:105], s[34:35], v[217:218]
	v_add_f64 v[197:198], v[219:220], v[197:198]
	v_mul_f64 v[219:220], v[139:140], s[10:11]
	v_add_f64 v[201:202], v[203:204], v[201:202]
	v_fma_f64 v[203:204], v[120:121], s[20:21], -v[219:220]
	v_fma_f64 v[221:222], v[120:121], s[20:21], v[219:220]
	v_add_f64 v[199:200], v[203:204], v[199:200]
	v_fma_f64 v[203:204], v[98:99], s[28:29], v[155:156]
	v_fma_f64 v[155:156], v[98:99], s[28:29], -v[155:156]
	v_fma_f64 v[98:99], v[98:99], s[24:25], -v[118:119]
	v_add_f64 v[195:196], v[221:222], v[195:196]
	v_mul_f64 v[221:222], v[137:138], s[20:21]
	v_add_f64 v[163:164], v[203:204], v[163:164]
	v_fma_f64 v[203:204], v[112:113], s[36:37], v[153:154]
	v_fma_f64 v[153:154], v[112:113], s[34:35], v[153:154]
	;; [unrolled: 1-line block ×3, first 2 shown]
	v_add_f64 v[155:156], v[155:156], v[159:160]
	v_add_f64 v[98:99], v[98:99], v[114:115]
	v_fma_f64 v[205:206], v[108:109], s[10:11], v[221:222]
	v_fma_f64 v[223:224], v[108:109], s[38:39], v[221:222]
	v_add_f64 v[161:162], v[203:204], v[161:162]
	v_fma_f64 v[203:204], v[102:103], s[18:19], v[151:152]
	v_add_f64 v[153:154], v[153:154], v[157:158]
	v_fma_f64 v[151:152], v[102:103], s[18:19], -v[151:152]
	v_fma_f64 v[102:103], v[102:103], s[22:23], -v[124:125]
	v_add_f64 v[112:113], v[112:113], v[116:117]
	v_add_f64 v[201:202], v[205:206], v[201:202]
	v_mul_f64 v[205:206], v[137:138], s[22:23]
	v_add_f64 v[197:198], v[223:224], v[197:198]
	v_add_f64 v[163:164], v[203:204], v[163:164]
	v_fma_f64 v[203:204], v[96:97], s[40:41], v[149:150]
	v_fma_f64 v[149:150], v[96:97], s[8:9], v[149:150]
	;; [unrolled: 1-line block ×3, first 2 shown]
	v_add_f64 v[151:152], v[151:152], v[155:156]
	v_add_f64 v[98:99], v[102:103], v[98:99]
	v_fma_f64 v[102:103], v[110:111], s[18:19], -v[132:133]
	v_add_f64 v[161:162], v[203:204], v[161:162]
	v_fma_f64 v[203:204], v[106:107], s[24:25], v[147:148]
	v_add_f64 v[149:150], v[149:150], v[153:154]
	v_fma_f64 v[147:148], v[106:107], s[24:25], -v[147:148]
	v_fma_f64 v[106:107], v[106:107], s[20:21], -v[128:129]
	v_add_f64 v[96:97], v[96:97], v[112:113]
	v_add_f64 v[163:164], v[203:204], v[163:164]
	v_fma_f64 v[203:204], v[100:101], s[14:15], v[145:146]
	v_fma_f64 v[145:146], v[100:101], s[30:31], v[145:146]
	;; [unrolled: 1-line block ×3, first 2 shown]
	v_add_f64 v[147:148], v[147:148], v[151:152]
	v_add_f64 v[98:99], v[106:107], v[98:99]
	v_fma_f64 v[106:107], v[108:109], s[6:7], v[167:168]
	v_add_f64 v[161:162], v[203:204], v[161:162]
	v_fma_f64 v[203:204], v[110:111], s[20:21], v[143:144]
	v_add_f64 v[145:146], v[145:146], v[149:150]
	v_fma_f64 v[143:144], v[110:111], s[20:21], -v[143:144]
	v_add_f64 v[96:97], v[100:101], v[96:97]
	v_fma_f64 v[100:101], v[120:121], s[16:17], -v[165:166]
	v_add_f64 v[98:99], v[102:103], v[98:99]
	v_add_f64 v[163:164], v[203:204], v[163:164]
	v_fma_f64 v[203:204], v[104:105], s[38:39], v[141:142]
	v_fma_f64 v[141:142], v[104:105], s[10:11], v[141:142]
	;; [unrolled: 1-line block ×3, first 2 shown]
	v_add_f64 v[143:144], v[143:144], v[147:148]
	v_fma_f64 v[147:148], v[108:109], s[26:27], v[205:206]
	v_add_f64 v[161:162], v[203:204], v[161:162]
	v_mul_f64 v[203:204], v[139:140], s[26:27]
	v_fma_f64 v[139:140], v[108:109], s[12:13], v[205:206]
	v_add_f64 v[145:146], v[141:142], v[145:146]
	v_add_f64 v[102:103], v[104:105], v[96:97]
	;; [unrolled: 1-line block ×3, first 2 shown]
	v_fma_f64 v[137:138], v[120:121], s[22:23], v[203:204]
	v_fma_f64 v[141:142], v[120:121], s[22:23], -v[203:204]
	v_add_f64 v[139:140], v[139:140], v[161:162]
	v_add_f64 v[98:99], v[106:107], v[102:103]
	v_add_f64 v[137:138], v[137:138], v[163:164]
	v_add_f64 v[141:142], v[141:142], v[143:144]
	v_add_f64 v[143:144], v[147:148], v[145:146]
	ds_write_b128 v173, v[84:87] offset:16
	ds_write_b128 v173, v[175:178] offset:32
	;; [unrolled: 1-line block ×12, first 2 shown]
	ds_write_b128 v173, v[88:91]
	s_waitcnt lgkmcnt(0)
	s_barrier
	buffer_gl0_inv
	ds_read_b128 v[84:87], v171
	ds_read_b128 v[88:91], v170 offset:32
	ds_read_b128 v[112:115], v170 offset:208
	;; [unrolled: 1-line block ×11, first 2 shown]
	s_and_saveexec_b32 s6, vcc_lo
	s_cbranch_execz .LBB0_7
; %bb.6:
	ds_read_b128 v[96:99], v174 offset:192
	ds_read_b128 v[72:75], v172 offset:400
.LBB0_7:
	s_or_b32 exec_lo, exec_lo, s6
	s_waitcnt lgkmcnt(9)
	v_mul_f64 v[137:138], v[58:59], v[114:115]
	v_mul_f64 v[58:59], v[58:59], v[112:113]
	s_waitcnt lgkmcnt(8)
	v_mul_f64 v[139:140], v[62:63], v[118:119]
	v_mul_f64 v[62:63], v[62:63], v[116:117]
	;; [unrolled: 3-line block ×6, first 2 shown]
	v_fma_f64 v[112:113], v[56:57], v[112:113], v[137:138]
	v_fma_f64 v[58:59], v[56:57], v[114:115], -v[58:59]
	v_fma_f64 v[114:115], v[60:61], v[116:117], v[139:140]
	v_fma_f64 v[62:63], v[60:61], v[118:119], -v[62:63]
	;; [unrolled: 2-line block ×6, first 2 shown]
	v_add_f64 v[56:57], v[84:85], -v[112:113]
	v_add_f64 v[58:59], v[86:87], -v[58:59]
	;; [unrolled: 1-line block ×12, first 2 shown]
	v_fma_f64 v[84:85], v[84:85], 2.0, -v[56:57]
	v_fma_f64 v[86:87], v[86:87], 2.0, -v[58:59]
	;; [unrolled: 1-line block ×12, first 2 shown]
	ds_write_b128 v171, v[84:87]
	ds_write_b128 v170, v[56:59] offset:208
	ds_write_b128 v170, v[88:91] offset:32
	;; [unrolled: 1-line block ×11, first 2 shown]
	s_and_saveexec_b32 s6, vcc_lo
	s_cbranch_execz .LBB0_9
; %bb.8:
	v_mul_f64 v[56:57], v[54:55], v[72:73]
	v_mul_f64 v[54:55], v[54:55], v[74:75]
	v_fma_f64 v[56:57], v[52:53], v[74:75], -v[56:57]
	v_fma_f64 v[52:53], v[52:53], v[72:73], v[54:55]
	v_add_f64 v[54:55], v[98:99], -v[56:57]
	v_add_f64 v[52:53], v[96:97], -v[52:53]
	v_fma_f64 v[58:59], v[98:99], 2.0, -v[54:55]
	v_fma_f64 v[56:57], v[96:97], 2.0, -v[52:53]
	ds_write_b128 v174, v[56:59] offset:192
	ds_write_b128 v172, v[52:55] offset:400
.LBB0_9:
	s_or_b32 exec_lo, exec_lo, s6
	s_waitcnt lgkmcnt(0)
	s_barrier
	buffer_gl0_inv
	ds_read_b128 v[52:55], v171
	ds_read_b128 v[56:59], v170 offset:32
	ds_read_b128 v[60:63], v170 offset:64
	v_mad_u64_u32 v[96:97], null, s2, v136, 0
	ds_read_b128 v[64:67], v170 offset:96
	ds_read_b128 v[68:71], v170 offset:128
	v_mul_lo_u32 v99, s1, v169
	v_mul_lo_u32 v98, s0, v169
	s_mov_b32 s6, 0x13b13b14
	s_mov_b32 s7, 0x3fa3b13b
	v_mov_b32_e32 v72, v97
	s_lshl_b64 s[0:1], s[0:1], 5
	v_mad_u64_u32 v[106:107], null, s3, v136, v[72:73]
	ds_read_b128 v[72:75], v170 offset:160
	ds_read_b128 v[76:79], v174 offset:192
	;; [unrolled: 1-line block ×6, first 2 shown]
	s_waitcnt lgkmcnt(10)
	v_mul_f64 v[100:101], v[2:3], v[54:55]
	v_mul_f64 v[2:3], v[2:3], v[52:53]
	s_waitcnt lgkmcnt(9)
	v_mul_f64 v[102:103], v[6:7], v[58:59]
	v_mul_f64 v[6:7], v[6:7], v[56:57]
	;; [unrolled: 3-line block ×3, first 2 shown]
	v_mov_b32_e32 v97, v106
	s_waitcnt lgkmcnt(7)
	v_mul_f64 v[106:107], v[10:11], v[66:67]
	v_mul_f64 v[10:11], v[10:11], v[64:65]
	s_waitcnt lgkmcnt(6)
	v_mul_f64 v[108:109], v[18:19], v[70:71]
	v_mul_f64 v[18:19], v[18:19], v[68:69]
	v_lshlrev_b64 v[96:97], 4, v[96:97]
	v_fma_f64 v[52:53], v[0:1], v[52:53], v[100:101]
	v_fma_f64 v[54:55], v[0:1], v[54:55], -v[2:3]
	v_fma_f64 v[56:57], v[4:5], v[56:57], v[102:103]
	v_fma_f64 v[58:59], v[4:5], v[58:59], -v[6:7]
	;; [unrolled: 2-line block ×3, first 2 shown]
	v_lshlrev_b64 v[12:13], 4, v[98:99]
	v_add_co_u32 v14, vcc_lo, s4, v96
	v_add_co_ci_u32_e32 v15, vcc_lo, s5, v97, vcc_lo
	v_fma_f64 v[64:65], v[8:9], v[64:65], v[106:107]
	v_add_co_u32 v96, vcc_lo, v14, v12
	v_fma_f64 v[66:67], v[8:9], v[66:67], -v[10:11]
	v_add_co_ci_u32_e32 v97, vcc_lo, v15, v13, vcc_lo
	v_fma_f64 v[68:69], v[16:17], v[68:69], v[108:109]
	v_fma_f64 v[70:71], v[16:17], v[70:71], -v[18:19]
	s_waitcnt lgkmcnt(5)
	v_mul_f64 v[98:99], v[22:23], v[74:75]
	v_mul_f64 v[22:23], v[22:23], v[72:73]
	ds_read_b128 v[0:3], v170 offset:352
	ds_read_b128 v[4:7], v170 offset:384
	v_mul_f64 v[8:9], v[52:53], s[6:7]
	v_mul_f64 v[10:11], v[54:55], s[6:7]
	;; [unrolled: 1-line block ×6, first 2 shown]
	s_waitcnt lgkmcnt(6)
	v_mul_f64 v[60:61], v[26:27], v[78:79]
	v_mul_f64 v[26:27], v[26:27], v[76:77]
	v_add_co_u32 v62, vcc_lo, v96, s0
	v_add_co_ci_u32_e32 v63, vcc_lo, s1, v97, vcc_lo
	v_mul_f64 v[52:53], v[64:65], s[6:7]
	v_add_co_u32 v100, vcc_lo, v62, s0
	v_add_co_ci_u32_e32 v101, vcc_lo, s1, v63, vcc_lo
	v_mul_f64 v[54:55], v[66:67], s[6:7]
	v_mul_f64 v[56:57], v[68:69], s[6:7]
	global_store_dwordx4 v[96:97], v[8:11], off
	global_store_dwordx4 v[62:63], v[12:15], off
	global_store_dwordx4 v[100:101], v[16:19], off
	s_waitcnt lgkmcnt(5)
	v_mul_f64 v[12:13], v[30:31], v[82:83]
	v_mul_f64 v[14:15], v[30:31], v[80:81]
	;; [unrolled: 1-line block ×3, first 2 shown]
	v_fma_f64 v[72:73], v[20:21], v[72:73], v[98:99]
	v_fma_f64 v[10:11], v[20:21], v[74:75], -v[22:23]
	s_waitcnt lgkmcnt(4)
	v_mul_f64 v[18:19], v[34:35], v[86:87]
	v_mul_f64 v[20:21], v[34:35], v[84:85]
	v_fma_f64 v[22:23], v[24:25], v[76:77], v[60:61]
	v_fma_f64 v[24:25], v[24:25], v[78:79], -v[26:27]
	s_waitcnt lgkmcnt(3)
	v_mul_f64 v[26:27], v[38:39], v[90:91]
	v_mul_f64 v[30:31], v[38:39], v[88:89]
	s_waitcnt lgkmcnt(2)
	v_mul_f64 v[34:35], v[42:43], v[94:95]
	v_mul_f64 v[38:39], v[42:43], v[92:93]
	;; [unrolled: 3-line block ×4, first 2 shown]
	v_add_co_u32 v98, vcc_lo, v100, s0
	v_add_co_ci_u32_e32 v99, vcc_lo, s1, v101, vcc_lo
	v_add_co_u32 v16, vcc_lo, v98, s0
	v_add_co_ci_u32_e32 v17, vcc_lo, s1, v99, vcc_lo
	global_store_dwordx4 v[98:99], v[52:55], off
	global_store_dwordx4 v[16:17], v[56:59], off
	v_fma_f64 v[52:53], v[28:29], v[80:81], v[12:13]
	v_fma_f64 v[28:29], v[28:29], v[82:83], -v[14:15]
	v_add_co_u32 v54, vcc_lo, v16, s0
	v_add_co_ci_u32_e32 v55, vcc_lo, s1, v17, vcc_lo
	v_fma_f64 v[16:17], v[32:33], v[84:85], v[18:19]
	v_fma_f64 v[18:19], v[32:33], v[86:87], -v[20:21]
	v_mul_f64 v[12:13], v[22:23], s[6:7]
	v_fma_f64 v[20:21], v[36:37], v[88:89], v[26:27]
	v_fma_f64 v[22:23], v[36:37], v[90:91], -v[30:31]
	v_mul_f64 v[14:15], v[24:25], s[6:7]
	v_fma_f64 v[24:25], v[40:41], v[92:93], v[34:35]
	v_fma_f64 v[26:27], v[40:41], v[94:95], -v[38:39]
	v_fma_f64 v[30:31], v[44:45], v[0:1], v[42:43]
	v_fma_f64 v[32:33], v[44:45], v[2:3], -v[46:47]
	;; [unrolled: 2-line block ×3, first 2 shown]
	v_mul_f64 v[8:9], v[72:73], s[6:7]
	v_mul_f64 v[10:11], v[10:11], s[6:7]
	v_add_co_u32 v38, vcc_lo, v54, s0
	v_add_co_ci_u32_e32 v39, vcc_lo, s1, v55, vcc_lo
	v_mul_f64 v[0:1], v[52:53], s[6:7]
	v_add_co_u32 v40, vcc_lo, v38, s0
	v_add_co_ci_u32_e32 v41, vcc_lo, s1, v39, vcc_lo
	v_mul_f64 v[2:3], v[28:29], s[6:7]
	v_add_co_u32 v42, vcc_lo, v40, s0
	v_mul_f64 v[4:5], v[16:17], s[6:7]
	v_mul_f64 v[6:7], v[18:19], s[6:7]
	v_add_co_ci_u32_e32 v43, vcc_lo, s1, v41, vcc_lo
	v_mul_f64 v[16:17], v[20:21], s[6:7]
	v_mul_f64 v[18:19], v[22:23], s[6:7]
	;; [unrolled: 1-line block ×8, first 2 shown]
	v_add_co_u32 v32, vcc_lo, v42, s0
	v_add_co_ci_u32_e32 v33, vcc_lo, s1, v43, vcc_lo
	global_store_dwordx4 v[54:55], v[8:11], off
	v_add_co_u32 v8, vcc_lo, v32, s0
	v_add_co_ci_u32_e32 v9, vcc_lo, s1, v33, vcc_lo
	global_store_dwordx4 v[38:39], v[12:15], off
	v_add_co_u32 v10, vcc_lo, v8, s0
	v_add_co_ci_u32_e32 v11, vcc_lo, s1, v9, vcc_lo
	global_store_dwordx4 v[40:41], v[0:3], off
	v_add_co_u32 v0, vcc_lo, v10, s0
	v_add_co_ci_u32_e32 v1, vcc_lo, s1, v11, vcc_lo
	global_store_dwordx4 v[42:43], v[4:7], off
	global_store_dwordx4 v[32:33], v[16:19], off
	global_store_dwordx4 v[8:9], v[20:23], off
	;; [unrolled: 1-line block ×4, first 2 shown]
.LBB0_10:
	s_endpgm
	.section	.rodata,"a",@progbits
	.p2align	6, 0x0
	.amdhsa_kernel bluestein_single_fwd_len26_dim1_dp_op_CI_CI
		.amdhsa_group_segment_fixed_size 13312
		.amdhsa_private_segment_fixed_size 0
		.amdhsa_kernarg_size 104
		.amdhsa_user_sgpr_count 6
		.amdhsa_user_sgpr_private_segment_buffer 1
		.amdhsa_user_sgpr_dispatch_ptr 0
		.amdhsa_user_sgpr_queue_ptr 0
		.amdhsa_user_sgpr_kernarg_segment_ptr 1
		.amdhsa_user_sgpr_dispatch_id 0
		.amdhsa_user_sgpr_flat_scratch_init 0
		.amdhsa_user_sgpr_private_segment_size 0
		.amdhsa_wavefront_size32 1
		.amdhsa_uses_dynamic_stack 0
		.amdhsa_system_sgpr_private_segment_wavefront_offset 0
		.amdhsa_system_sgpr_workgroup_id_x 1
		.amdhsa_system_sgpr_workgroup_id_y 0
		.amdhsa_system_sgpr_workgroup_id_z 0
		.amdhsa_system_sgpr_workgroup_info 0
		.amdhsa_system_vgpr_workitem_id 0
		.amdhsa_next_free_vgpr 225
		.amdhsa_next_free_sgpr 44
		.amdhsa_reserve_vcc 1
		.amdhsa_reserve_flat_scratch 0
		.amdhsa_float_round_mode_32 0
		.amdhsa_float_round_mode_16_64 0
		.amdhsa_float_denorm_mode_32 3
		.amdhsa_float_denorm_mode_16_64 3
		.amdhsa_dx10_clamp 1
		.amdhsa_ieee_mode 1
		.amdhsa_fp16_overflow 0
		.amdhsa_workgroup_processor_mode 1
		.amdhsa_memory_ordered 1
		.amdhsa_forward_progress 0
		.amdhsa_shared_vgpr_count 0
		.amdhsa_exception_fp_ieee_invalid_op 0
		.amdhsa_exception_fp_denorm_src 0
		.amdhsa_exception_fp_ieee_div_zero 0
		.amdhsa_exception_fp_ieee_overflow 0
		.amdhsa_exception_fp_ieee_underflow 0
		.amdhsa_exception_fp_ieee_inexact 0
		.amdhsa_exception_int_div_zero 0
	.end_amdhsa_kernel
	.text
.Lfunc_end0:
	.size	bluestein_single_fwd_len26_dim1_dp_op_CI_CI, .Lfunc_end0-bluestein_single_fwd_len26_dim1_dp_op_CI_CI
                                        ; -- End function
	.section	.AMDGPU.csdata,"",@progbits
; Kernel info:
; codeLenInByte = 12312
; NumSgprs: 46
; NumVgprs: 225
; ScratchSize: 0
; MemoryBound: 0
; FloatMode: 240
; IeeeMode: 1
; LDSByteSize: 13312 bytes/workgroup (compile time only)
; SGPRBlocks: 5
; VGPRBlocks: 28
; NumSGPRsForWavesPerEU: 46
; NumVGPRsForWavesPerEU: 225
; Occupancy: 4
; WaveLimiterHint : 1
; COMPUTE_PGM_RSRC2:SCRATCH_EN: 0
; COMPUTE_PGM_RSRC2:USER_SGPR: 6
; COMPUTE_PGM_RSRC2:TRAP_HANDLER: 0
; COMPUTE_PGM_RSRC2:TGID_X_EN: 1
; COMPUTE_PGM_RSRC2:TGID_Y_EN: 0
; COMPUTE_PGM_RSRC2:TGID_Z_EN: 0
; COMPUTE_PGM_RSRC2:TIDIG_COMP_CNT: 0
	.text
	.p2alignl 6, 3214868480
	.fill 48, 4, 3214868480
	.type	__hip_cuid_c2f84b573ddcc5d7,@object ; @__hip_cuid_c2f84b573ddcc5d7
	.section	.bss,"aw",@nobits
	.globl	__hip_cuid_c2f84b573ddcc5d7
__hip_cuid_c2f84b573ddcc5d7:
	.byte	0                               ; 0x0
	.size	__hip_cuid_c2f84b573ddcc5d7, 1

	.ident	"AMD clang version 19.0.0git (https://github.com/RadeonOpenCompute/llvm-project roc-6.4.0 25133 c7fe45cf4b819c5991fe208aaa96edf142730f1d)"
	.section	".note.GNU-stack","",@progbits
	.addrsig
	.addrsig_sym __hip_cuid_c2f84b573ddcc5d7
	.amdgpu_metadata
---
amdhsa.kernels:
  - .args:
      - .actual_access:  read_only
        .address_space:  global
        .offset:         0
        .size:           8
        .value_kind:     global_buffer
      - .actual_access:  read_only
        .address_space:  global
        .offset:         8
        .size:           8
        .value_kind:     global_buffer
      - .actual_access:  read_only
        .address_space:  global
        .offset:         16
        .size:           8
        .value_kind:     global_buffer
      - .actual_access:  read_only
        .address_space:  global
        .offset:         24
        .size:           8
        .value_kind:     global_buffer
      - .actual_access:  read_only
        .address_space:  global
        .offset:         32
        .size:           8
        .value_kind:     global_buffer
      - .offset:         40
        .size:           8
        .value_kind:     by_value
      - .address_space:  global
        .offset:         48
        .size:           8
        .value_kind:     global_buffer
      - .address_space:  global
        .offset:         56
        .size:           8
        .value_kind:     global_buffer
      - .address_space:  global
        .offset:         64
        .size:           8
        .value_kind:     global_buffer
      - .address_space:  global
        .offset:         72
        .size:           8
        .value_kind:     global_buffer
      - .offset:         80
        .size:           4
        .value_kind:     by_value
      - .address_space:  global
        .offset:         88
        .size:           8
        .value_kind:     global_buffer
      - .address_space:  global
        .offset:         96
        .size:           8
        .value_kind:     global_buffer
    .group_segment_fixed_size: 13312
    .kernarg_segment_align: 8
    .kernarg_segment_size: 104
    .language:       OpenCL C
    .language_version:
      - 2
      - 0
    .max_flat_workgroup_size: 64
    .name:           bluestein_single_fwd_len26_dim1_dp_op_CI_CI
    .private_segment_fixed_size: 0
    .sgpr_count:     46
    .sgpr_spill_count: 0
    .symbol:         bluestein_single_fwd_len26_dim1_dp_op_CI_CI.kd
    .uniform_work_group_size: 1
    .uses_dynamic_stack: false
    .vgpr_count:     225
    .vgpr_spill_count: 0
    .wavefront_size: 32
    .workgroup_processor_mode: 1
amdhsa.target:   amdgcn-amd-amdhsa--gfx1030
amdhsa.version:
  - 1
  - 2
...

	.end_amdgpu_metadata
